;; amdgpu-corpus repo=ROCm/rocFFT kind=compiled arch=gfx1030 opt=O3
	.text
	.amdgcn_target "amdgcn-amd-amdhsa--gfx1030"
	.amdhsa_code_object_version 6
	.protected	fft_rtc_back_len616_factors_11_7_8_wgs_88_tpt_88_half_op_CI_CI_unitstride_sbrr_C2R_dirReg ; -- Begin function fft_rtc_back_len616_factors_11_7_8_wgs_88_tpt_88_half_op_CI_CI_unitstride_sbrr_C2R_dirReg
	.globl	fft_rtc_back_len616_factors_11_7_8_wgs_88_tpt_88_half_op_CI_CI_unitstride_sbrr_C2R_dirReg
	.p2align	8
	.type	fft_rtc_back_len616_factors_11_7_8_wgs_88_tpt_88_half_op_CI_CI_unitstride_sbrr_C2R_dirReg,@function
fft_rtc_back_len616_factors_11_7_8_wgs_88_tpt_88_half_op_CI_CI_unitstride_sbrr_C2R_dirReg: ; @fft_rtc_back_len616_factors_11_7_8_wgs_88_tpt_88_half_op_CI_CI_unitstride_sbrr_C2R_dirReg
; %bb.0:
	s_clause 0x2
	s_load_dwordx4 s[12:15], s[4:5], 0x0
	s_load_dwordx4 s[8:11], s[4:5], 0x58
	;; [unrolled: 1-line block ×3, first 2 shown]
	v_mul_u32_u24_e32 v1, 0x2e9, v0
	v_mov_b32_e32 v8, 0
	v_mov_b32_e32 v6, 0
	;; [unrolled: 1-line block ×3, first 2 shown]
	v_add_nc_u32_sdwa v10, s6, v1 dst_sel:DWORD dst_unused:UNUSED_PAD src0_sel:DWORD src1_sel:WORD_1
	v_mov_b32_e32 v11, v8
	s_waitcnt lgkmcnt(0)
	v_cmp_lt_u64_e64 s0, s[14:15], 2
	s_and_b32 vcc_lo, exec_lo, s0
	s_cbranch_vccnz .LBB0_8
; %bb.1:
	s_load_dwordx2 s[0:1], s[4:5], 0x10
	v_mov_b32_e32 v6, 0
	v_mov_b32_e32 v7, 0
	s_add_u32 s2, s18, 8
	s_addc_u32 s3, s19, 0
	v_mov_b32_e32 v1, v6
	s_add_u32 s6, s16, 8
	v_mov_b32_e32 v2, v7
	s_addc_u32 s7, s17, 0
	s_mov_b64 s[22:23], 1
	s_waitcnt lgkmcnt(0)
	s_add_u32 s20, s0, 8
	s_addc_u32 s21, s1, 0
.LBB0_2:                                ; =>This Inner Loop Header: Depth=1
	s_load_dwordx2 s[24:25], s[20:21], 0x0
                                        ; implicit-def: $vgpr3_vgpr4
	s_mov_b32 s0, exec_lo
	s_waitcnt lgkmcnt(0)
	v_or_b32_e32 v9, s25, v11
	v_cmpx_ne_u64_e32 0, v[8:9]
	s_xor_b32 s1, exec_lo, s0
	s_cbranch_execz .LBB0_4
; %bb.3:                                ;   in Loop: Header=BB0_2 Depth=1
	v_cvt_f32_u32_e32 v3, s24
	v_cvt_f32_u32_e32 v4, s25
	s_sub_u32 s0, 0, s24
	s_subb_u32 s26, 0, s25
	v_fmac_f32_e32 v3, 0x4f800000, v4
	v_rcp_f32_e32 v3, v3
	v_mul_f32_e32 v3, 0x5f7ffffc, v3
	v_mul_f32_e32 v4, 0x2f800000, v3
	v_trunc_f32_e32 v4, v4
	v_fmac_f32_e32 v3, 0xcf800000, v4
	v_cvt_u32_f32_e32 v4, v4
	v_cvt_u32_f32_e32 v3, v3
	v_mul_lo_u32 v5, s0, v4
	v_mul_hi_u32 v9, s0, v3
	v_mul_lo_u32 v12, s26, v3
	v_add_nc_u32_e32 v5, v9, v5
	v_mul_lo_u32 v9, s0, v3
	v_add_nc_u32_e32 v5, v5, v12
	v_mul_hi_u32 v12, v3, v9
	v_mul_lo_u32 v13, v3, v5
	v_mul_hi_u32 v14, v3, v5
	v_mul_hi_u32 v15, v4, v9
	v_mul_lo_u32 v9, v4, v9
	v_mul_hi_u32 v16, v4, v5
	v_mul_lo_u32 v5, v4, v5
	v_add_co_u32 v12, vcc_lo, v12, v13
	v_add_co_ci_u32_e32 v13, vcc_lo, 0, v14, vcc_lo
	v_add_co_u32 v9, vcc_lo, v12, v9
	v_add_co_ci_u32_e32 v9, vcc_lo, v13, v15, vcc_lo
	v_add_co_ci_u32_e32 v12, vcc_lo, 0, v16, vcc_lo
	v_add_co_u32 v5, vcc_lo, v9, v5
	v_add_co_ci_u32_e32 v9, vcc_lo, 0, v12, vcc_lo
	v_add_co_u32 v3, vcc_lo, v3, v5
	v_add_co_ci_u32_e32 v4, vcc_lo, v4, v9, vcc_lo
	v_mul_hi_u32 v5, s0, v3
	v_mul_lo_u32 v12, s26, v3
	v_mul_lo_u32 v9, s0, v4
	v_add_nc_u32_e32 v5, v5, v9
	v_mul_lo_u32 v9, s0, v3
	v_add_nc_u32_e32 v5, v5, v12
	v_mul_hi_u32 v12, v3, v9
	v_mul_lo_u32 v13, v3, v5
	v_mul_hi_u32 v14, v3, v5
	v_mul_hi_u32 v15, v4, v9
	v_mul_lo_u32 v9, v4, v9
	v_mul_hi_u32 v16, v4, v5
	v_mul_lo_u32 v5, v4, v5
	v_add_co_u32 v12, vcc_lo, v12, v13
	v_add_co_ci_u32_e32 v13, vcc_lo, 0, v14, vcc_lo
	v_add_co_u32 v9, vcc_lo, v12, v9
	v_add_co_ci_u32_e32 v9, vcc_lo, v13, v15, vcc_lo
	v_add_co_ci_u32_e32 v12, vcc_lo, 0, v16, vcc_lo
	v_add_co_u32 v5, vcc_lo, v9, v5
	v_add_co_ci_u32_e32 v9, vcc_lo, 0, v12, vcc_lo
	v_add_co_u32 v5, vcc_lo, v3, v5
	v_add_co_ci_u32_e32 v9, vcc_lo, v4, v9, vcc_lo
	v_mul_hi_u32 v16, v10, v5
	v_mad_u64_u32 v[12:13], null, v11, v5, 0
	v_mad_u64_u32 v[3:4], null, v10, v9, 0
	;; [unrolled: 1-line block ×3, first 2 shown]
	v_add_co_u32 v3, vcc_lo, v16, v3
	v_add_co_ci_u32_e32 v4, vcc_lo, 0, v4, vcc_lo
	v_add_co_u32 v3, vcc_lo, v3, v12
	v_add_co_ci_u32_e32 v3, vcc_lo, v4, v13, vcc_lo
	v_add_co_ci_u32_e32 v4, vcc_lo, 0, v15, vcc_lo
	v_add_co_u32 v5, vcc_lo, v3, v14
	v_add_co_ci_u32_e32 v9, vcc_lo, 0, v4, vcc_lo
	v_mul_lo_u32 v12, s25, v5
	v_mad_u64_u32 v[3:4], null, s24, v5, 0
	v_mul_lo_u32 v13, s24, v9
	v_sub_co_u32 v3, vcc_lo, v10, v3
	v_add3_u32 v4, v4, v13, v12
	v_sub_nc_u32_e32 v12, v11, v4
	v_subrev_co_ci_u32_e64 v12, s0, s25, v12, vcc_lo
	v_add_co_u32 v13, s0, v5, 2
	v_add_co_ci_u32_e64 v14, s0, 0, v9, s0
	v_sub_co_u32 v15, s0, v3, s24
	v_sub_co_ci_u32_e32 v4, vcc_lo, v11, v4, vcc_lo
	v_subrev_co_ci_u32_e64 v12, s0, 0, v12, s0
	v_cmp_le_u32_e32 vcc_lo, s24, v15
	v_cmp_eq_u32_e64 s0, s25, v4
	v_cndmask_b32_e64 v15, 0, -1, vcc_lo
	v_cmp_le_u32_e32 vcc_lo, s25, v12
	v_cndmask_b32_e64 v16, 0, -1, vcc_lo
	v_cmp_le_u32_e32 vcc_lo, s24, v3
	;; [unrolled: 2-line block ×3, first 2 shown]
	v_cndmask_b32_e64 v17, 0, -1, vcc_lo
	v_cmp_eq_u32_e32 vcc_lo, s25, v12
	v_cndmask_b32_e64 v3, v17, v3, s0
	v_cndmask_b32_e32 v12, v16, v15, vcc_lo
	v_add_co_u32 v15, vcc_lo, v5, 1
	v_add_co_ci_u32_e32 v16, vcc_lo, 0, v9, vcc_lo
	v_cmp_ne_u32_e32 vcc_lo, 0, v12
	v_cndmask_b32_e32 v4, v16, v14, vcc_lo
	v_cndmask_b32_e32 v12, v15, v13, vcc_lo
	v_cmp_ne_u32_e32 vcc_lo, 0, v3
	v_cndmask_b32_e32 v4, v9, v4, vcc_lo
	v_cndmask_b32_e32 v3, v5, v12, vcc_lo
.LBB0_4:                                ;   in Loop: Header=BB0_2 Depth=1
	s_andn2_saveexec_b32 s0, s1
	s_cbranch_execz .LBB0_6
; %bb.5:                                ;   in Loop: Header=BB0_2 Depth=1
	v_cvt_f32_u32_e32 v3, s24
	s_sub_i32 s1, 0, s24
	v_rcp_iflag_f32_e32 v3, v3
	v_mul_f32_e32 v3, 0x4f7ffffe, v3
	v_cvt_u32_f32_e32 v3, v3
	v_mul_lo_u32 v4, s1, v3
	v_mul_hi_u32 v4, v3, v4
	v_add_nc_u32_e32 v3, v3, v4
	v_mul_hi_u32 v3, v10, v3
	v_mul_lo_u32 v4, v3, s24
	v_add_nc_u32_e32 v5, 1, v3
	v_sub_nc_u32_e32 v4, v10, v4
	v_subrev_nc_u32_e32 v9, s24, v4
	v_cmp_le_u32_e32 vcc_lo, s24, v4
	v_cndmask_b32_e32 v4, v4, v9, vcc_lo
	v_cndmask_b32_e32 v3, v3, v5, vcc_lo
	v_cmp_le_u32_e32 vcc_lo, s24, v4
	v_add_nc_u32_e32 v5, 1, v3
	v_mov_b32_e32 v4, v8
	v_cndmask_b32_e32 v3, v3, v5, vcc_lo
.LBB0_6:                                ;   in Loop: Header=BB0_2 Depth=1
	s_or_b32 exec_lo, exec_lo, s0
	v_mul_lo_u32 v5, v4, s24
	v_mul_lo_u32 v9, v3, s25
	s_load_dwordx2 s[0:1], s[6:7], 0x0
	v_mad_u64_u32 v[12:13], null, v3, s24, 0
	s_load_dwordx2 s[24:25], s[2:3], 0x0
	s_add_u32 s22, s22, 1
	s_addc_u32 s23, s23, 0
	s_add_u32 s2, s2, 8
	s_addc_u32 s3, s3, 0
	s_add_u32 s6, s6, 8
	v_add3_u32 v5, v13, v9, v5
	v_sub_co_u32 v9, vcc_lo, v10, v12
	s_addc_u32 s7, s7, 0
	s_add_u32 s20, s20, 8
	v_sub_co_ci_u32_e32 v5, vcc_lo, v11, v5, vcc_lo
	s_addc_u32 s21, s21, 0
	s_waitcnt lgkmcnt(0)
	v_mul_lo_u32 v10, s0, v5
	v_mul_lo_u32 v11, s1, v9
	v_mad_u64_u32 v[6:7], null, s0, v9, v[6:7]
	v_mul_lo_u32 v5, s24, v5
	v_mul_lo_u32 v12, s25, v9
	v_mad_u64_u32 v[1:2], null, s24, v9, v[1:2]
	v_cmp_ge_u64_e64 s0, s[22:23], s[14:15]
	v_add3_u32 v7, v11, v7, v10
	v_add3_u32 v2, v12, v2, v5
	s_and_b32 vcc_lo, exec_lo, s0
	s_cbranch_vccnz .LBB0_9
; %bb.7:                                ;   in Loop: Header=BB0_2 Depth=1
	v_mov_b32_e32 v11, v4
	v_mov_b32_e32 v10, v3
	s_branch .LBB0_2
.LBB0_8:
	v_mov_b32_e32 v1, v6
	v_mov_b32_e32 v3, v10
	;; [unrolled: 1-line block ×4, first 2 shown]
.LBB0_9:
	s_load_dwordx2 s[0:1], s[4:5], 0x28
	v_mul_hi_u32 v8, 0x2e8ba2f, v0
	s_lshl_b64 s[4:5], s[14:15], 3
                                        ; implicit-def: $vgpr5
	s_add_u32 s2, s18, s4
	s_addc_u32 s3, s19, s5
	s_waitcnt lgkmcnt(0)
	v_cmp_gt_u64_e32 vcc_lo, s[0:1], v[3:4]
	v_cmp_le_u64_e64 s0, s[0:1], v[3:4]
	s_and_saveexec_b32 s1, s0
	s_xor_b32 s0, exec_lo, s1
; %bb.10:
	v_mul_u32_u24_e32 v5, 0x58, v8
                                        ; implicit-def: $vgpr8
                                        ; implicit-def: $vgpr6_vgpr7
	v_sub_nc_u32_e32 v5, v0, v5
                                        ; implicit-def: $vgpr0
; %bb.11:
	s_or_saveexec_b32 s1, s0
	s_load_dwordx2 s[2:3], s[2:3], 0x0
	s_xor_b32 exec_lo, exec_lo, s1
	s_cbranch_execz .LBB0_15
; %bb.12:
	s_add_u32 s4, s16, s4
	s_addc_u32 s5, s17, s5
	v_lshlrev_b64 v[6:7], 2, v[6:7]
	s_load_dwordx2 s[4:5], s[4:5], 0x0
	s_waitcnt lgkmcnt(0)
	v_mul_lo_u32 v5, s5, v3
	v_mul_lo_u32 v11, s4, v4
	v_mad_u64_u32 v[9:10], null, s4, v3, 0
	s_mov_b32 s4, exec_lo
	v_add3_u32 v10, v10, v11, v5
	v_mul_u32_u24_e32 v5, 0x58, v8
	v_lshlrev_b64 v[8:9], 2, v[9:10]
	v_sub_nc_u32_e32 v5, v0, v5
	v_lshlrev_b32_e32 v11, 2, v5
	v_add_co_u32 v0, s0, s8, v8
	v_add_co_ci_u32_e64 v8, s0, s9, v9, s0
	v_add_co_u32 v0, s0, v0, v6
	v_add_co_ci_u32_e64 v6, s0, v8, v7, s0
	;; [unrolled: 2-line block ×4, first 2 shown]
	s_clause 0x6
	global_load_dword v12, v[7:8], off
	global_load_dword v13, v[7:8], off offset:352
	global_load_dword v14, v[7:8], off offset:704
	;; [unrolled: 1-line block ×6, first 2 shown]
	v_add_nc_u32_e32 v9, 0, v11
	v_add_nc_u32_e32 v10, 0x200, v9
	;; [unrolled: 1-line block ×3, first 2 shown]
	s_waitcnt vmcnt(5)
	ds_write2_b32 v9, v12, v13 offset1:88
	s_waitcnt vmcnt(3)
	ds_write2_b32 v10, v14, v15 offset0:48 offset1:136
	s_waitcnt vmcnt(1)
	ds_write2_b32 v11, v16, v7 offset0:96 offset1:184
	s_waitcnt vmcnt(0)
	ds_write_b32 v9, v8 offset:2112
	v_cmpx_eq_u32_e32 0x57, v5
	s_cbranch_execz .LBB0_14
; %bb.13:
	v_add_co_u32 v5, s0, 0x800, v0
	v_add_co_ci_u32_e64 v6, s0, 0, v6, s0
	global_load_dword v0, v[5:6], off offset:416
	v_mov_b32_e32 v6, 0
	v_mov_b32_e32 v5, 0x57
	s_waitcnt vmcnt(0)
	ds_write_b32 v6, v0 offset:2464
.LBB0_14:
	s_or_b32 exec_lo, exec_lo, s4
.LBB0_15:
	s_or_b32 exec_lo, exec_lo, s1
	v_lshlrev_b32_e32 v6, 2, v5
	s_waitcnt lgkmcnt(0)
	s_barrier
	buffer_gl0_inv
	s_add_u32 s1, s12, 0x974
	v_add_nc_u32_e32 v0, 0, v6
	v_sub_nc_u32_e32 v8, 0, v6
	s_addc_u32 s4, s13, 0
	s_mov_b32 s5, exec_lo
	ds_read_u16 v6, v0
	ds_read_u16 v7, v8 offset:2464
	s_waitcnt lgkmcnt(0)
	v_add_f16_e32 v10, v7, v6
	v_sub_f16_e32 v9, v6, v7
                                        ; implicit-def: $vgpr6_vgpr7
	v_cmpx_ne_u32_e32 0, v5
	s_xor_b32 s5, exec_lo, s5
	s_cbranch_execz .LBB0_17
; %bb.16:
	v_mov_b32_e32 v6, 0
	v_lshlrev_b64 v[11:12], 2, v[5:6]
	v_add_co_u32 v11, s0, s1, v11
	v_add_co_ci_u32_e64 v12, s0, s4, v12, s0
	global_load_dword v7, v[11:12], off
	ds_read_u16 v11, v8 offset:2466
	ds_read_u16 v12, v0 offset:2
	s_waitcnt lgkmcnt(0)
	v_add_f16_e32 v13, v11, v12
	v_sub_f16_e32 v11, v12, v11
	s_waitcnt vmcnt(0)
	v_lshrrev_b32_e32 v14, 16, v7
	v_fma_f16 v12, v9, v14, v10
	v_fma_f16 v15, v13, v14, v11
	v_fma_f16 v10, -v9, v14, v10
	v_fma_f16 v11, v13, v14, -v11
	v_fma_f16 v12, -v7, v13, v12
	v_fmac_f16_e32 v15, v9, v7
	v_fmac_f16_e32 v10, v7, v13
	;; [unrolled: 1-line block ×3, first 2 shown]
	v_mov_b32_e32 v7, v6
	v_mov_b32_e32 v6, v5
	v_pack_b32_f16 v9, v12, v15
	v_pack_b32_f16 v10, v10, v11
	ds_write_b32 v0, v9
	ds_write_b32 v8, v10 offset:2464
                                        ; implicit-def: $vgpr10
                                        ; implicit-def: $vgpr9
.LBB0_17:
	s_andn2_saveexec_b32 s0, s5
	s_cbranch_execz .LBB0_19
; %bb.18:
	v_pack_b32_f16 v6, v10, v9
	v_mov_b32_e32 v9, 0
	ds_write_b32 v0, v6
	ds_read_b32 v6, v9 offset:1232
	s_waitcnt lgkmcnt(0)
	v_pk_mul_f16 v10, 0xc0004000, v6
	v_mov_b32_e32 v6, 0
	v_mov_b32_e32 v7, 0
	ds_write_b32 v9, v10 offset:1232
.LBB0_19:
	s_or_b32 exec_lo, exec_lo, s0
	v_lshlrev_b64 v[6:7], 2, v[6:7]
	v_add_co_u32 v6, s0, s1, v6
	v_add_co_ci_u32_e64 v7, s0, s4, v7, s0
	s_mov_b32 s1, exec_lo
	s_clause 0x1
	global_load_dword v9, v[6:7], off offset:352
	global_load_dword v10, v[6:7], off offset:704
	ds_read_b32 v11, v0 offset:352
	ds_read_b32 v12, v8 offset:2112
	s_waitcnt lgkmcnt(0)
	v_add_f16_e32 v13, v11, v12
	v_add_f16_sdwa v14, v12, v11 dst_sel:DWORD dst_unused:UNUSED_PAD src0_sel:WORD_1 src1_sel:WORD_1
	v_sub_f16_e32 v15, v11, v12
	v_sub_f16_sdwa v11, v11, v12 dst_sel:DWORD dst_unused:UNUSED_PAD src0_sel:WORD_1 src1_sel:WORD_1
	s_waitcnt vmcnt(1)
	v_lshrrev_b32_e32 v16, 16, v9
	v_fma_f16 v12, v15, v16, v13
	v_fma_f16 v17, v14, v16, v11
	v_fma_f16 v13, -v15, v16, v13
	v_fma_f16 v11, v14, v16, -v11
	v_fma_f16 v12, -v9, v14, v12
	v_fmac_f16_e32 v17, v15, v9
	v_fmac_f16_e32 v13, v9, v14
	;; [unrolled: 1-line block ×3, first 2 shown]
	v_pack_b32_f16 v9, v12, v17
	s_waitcnt vmcnt(0)
	v_lshrrev_b32_e32 v12, 16, v10
	v_pack_b32_f16 v11, v13, v11
	ds_write_b32 v0, v9 offset:352
	ds_write_b32 v8, v11 offset:2112
	ds_read_b32 v9, v0 offset:704
	ds_read_b32 v11, v8 offset:1760
	s_waitcnt lgkmcnt(0)
	v_add_f16_e32 v13, v9, v11
	v_add_f16_sdwa v14, v11, v9 dst_sel:DWORD dst_unused:UNUSED_PAD src0_sel:WORD_1 src1_sel:WORD_1
	v_sub_f16_e32 v15, v9, v11
	v_sub_f16_sdwa v9, v9, v11 dst_sel:DWORD dst_unused:UNUSED_PAD src0_sel:WORD_1 src1_sel:WORD_1
	v_fma_f16 v11, v15, v12, v13
	v_fma_f16 v16, v14, v12, v9
	v_fma_f16 v13, -v15, v12, v13
	v_fma_f16 v9, v14, v12, -v9
	v_fma_f16 v11, -v10, v14, v11
	v_fmac_f16_e32 v16, v15, v10
	v_fmac_f16_e32 v13, v10, v14
	;; [unrolled: 1-line block ×3, first 2 shown]
	v_pack_b32_f16 v10, v11, v16
	v_pack_b32_f16 v9, v13, v9
	ds_write_b32 v0, v10 offset:704
	ds_write_b32 v8, v9 offset:1760
	v_cmpx_gt_u32_e32 44, v5
	s_cbranch_execz .LBB0_21
; %bb.20:
	global_load_dword v6, v[6:7], off offset:1056
	ds_read_b32 v7, v0 offset:1056
	ds_read_b32 v9, v8 offset:1408
	s_waitcnt lgkmcnt(0)
	v_add_f16_e32 v10, v7, v9
	v_add_f16_sdwa v11, v9, v7 dst_sel:DWORD dst_unused:UNUSED_PAD src0_sel:WORD_1 src1_sel:WORD_1
	v_sub_f16_e32 v12, v7, v9
	v_sub_f16_sdwa v7, v7, v9 dst_sel:DWORD dst_unused:UNUSED_PAD src0_sel:WORD_1 src1_sel:WORD_1
	s_waitcnt vmcnt(0)
	v_lshrrev_b32_e32 v13, 16, v6
	v_fma_f16 v9, v12, v13, v10
	v_fma_f16 v14, v11, v13, v7
	v_fma_f16 v10, -v12, v13, v10
	v_fma_f16 v7, v11, v13, -v7
	v_fma_f16 v9, -v6, v11, v9
	v_fmac_f16_e32 v14, v12, v6
	v_fmac_f16_e32 v10, v6, v11
	;; [unrolled: 1-line block ×3, first 2 shown]
	v_pack_b32_f16 v6, v9, v14
	v_pack_b32_f16 v7, v10, v7
	ds_write_b32 v0, v6 offset:1056
	ds_write_b32 v8, v7 offset:1408
.LBB0_21:
	s_or_b32 exec_lo, exec_lo, s1
	s_waitcnt lgkmcnt(0)
	s_barrier
	buffer_gl0_inv
	s_barrier
	buffer_gl0_inv
	ds_read2_b32 v[8:9], v0 offset1:56
	v_add_nc_u32_e32 v6, 0x400, v0
	v_add_nc_u32_e32 v19, 0x200, v0
	ds_read_b32 v26, v0 offset:2240
	ds_read2_b32 v[16:17], v0 offset0:112 offset1:168
	ds_read2_b32 v[10:11], v6 offset0:192 offset1:248
	;; [unrolled: 1-line block ×4, first 2 shown]
	s_mov_b32 s1, exec_lo
	s_waitcnt lgkmcnt(0)
	s_barrier
	buffer_gl0_inv
	v_pk_add_f16 v25, v9, v26 neg_lo:[0,1] neg_hi:[0,1]
	v_pk_add_f16 v30, v26, v9
	v_pk_add_f16 v23, v16, v11 neg_lo:[0,1] neg_hi:[0,1]
	v_pk_add_f16 v29, v11, v16
	v_pk_add_f16 v21, v17, v10 neg_lo:[0,1] neg_hi:[0,1]
	v_pk_mul_f16 v7, 0xba0c, v25 op_sel_hi:[0,1]
	v_pk_add_f16 v28, v10, v17
	v_pk_mul_f16 v18, 0x3beb, v23 op_sel_hi:[0,1]
	v_pk_add_f16 v22, v14, v13 neg_lo:[0,1] neg_hi:[0,1]
	v_pk_add_f16 v27, v13, v14
	v_pk_fma_f16 v31, 0xb93d, v30, v7 op_sel:[0,0,1] op_sel_hi:[0,1,0] neg_lo:[0,0,1] neg_hi:[0,0,1]
	v_pk_fma_f16 v32, 0xb93d, v30, v7 op_sel:[0,0,1] op_sel_hi:[0,1,0]
	v_pk_mul_f16 v7, 0xb853, v21 op_sel_hi:[0,1]
	v_pk_fma_f16 v33, 0xb08e, v29, v18 op_sel:[0,0,1] op_sel_hi:[0,1,0] neg_lo:[0,0,1] neg_hi:[0,0,1]
	v_pk_fma_f16 v35, 0xb08e, v29, v18 op_sel:[0,0,1] op_sel_hi:[0,1,0]
	v_add_f16_e32 v18, v8, v31
	v_add_f16_sdwa v34, v8, v32 dst_sel:DWORD dst_unused:UNUSED_PAD src0_sel:WORD_1 src1_sel:WORD_1
	v_pk_add_f16 v20, v15, v12 neg_lo:[0,1] neg_hi:[0,1]
	v_pk_mul_f16 v36, 0xb482, v22 op_sel_hi:[0,1]
	v_pk_fma_f16 v38, 0x3abb, v28, v7 op_sel:[0,0,1] op_sel_hi:[0,1,0] neg_lo:[0,0,1] neg_hi:[0,0,1]
	v_pk_fma_f16 v40, 0x3abb, v28, v7 op_sel:[0,0,1] op_sel_hi:[0,1,0]
	v_add_f16_e32 v7, v33, v18
	v_add_f16_sdwa v18, v35, v34 dst_sel:DWORD dst_unused:UNUSED_PAD src0_sel:WORD_1 src1_sel:DWORD
	v_pk_add_f16 v24, v12, v15
	v_pk_mul_f16 v41, 0x3b47, v20 op_sel_hi:[0,1]
	v_pk_fma_f16 v37, 0xbbad, v27, v36 op_sel:[0,0,1] op_sel_hi:[0,1,0] neg_lo:[0,0,1] neg_hi:[0,0,1]
	v_pk_fma_f16 v39, 0xbbad, v27, v36 op_sel:[0,0,1] op_sel_hi:[0,1,0]
	v_add_f16_e32 v7, v38, v7
	v_add_f16_sdwa v18, v40, v18 dst_sel:DWORD dst_unused:UNUSED_PAD src0_sel:WORD_1 src1_sel:DWORD
	v_pk_fma_f16 v34, 0x36a6, v24, v41 op_sel:[0,0,1] op_sel_hi:[0,1,0] neg_lo:[0,0,1] neg_hi:[0,0,1]
	v_pk_fma_f16 v36, 0x36a6, v24, v41 op_sel:[0,0,1] op_sel_hi:[0,1,0]
	v_add_f16_e32 v7, v37, v7
	v_add_f16_sdwa v18, v39, v18 dst_sel:DWORD dst_unused:UNUSED_PAD src0_sel:WORD_1 src1_sel:DWORD
	v_add_f16_e32 v7, v34, v7
	v_add_f16_sdwa v18, v36, v18 dst_sel:DWORD dst_unused:UNUSED_PAD src0_sel:WORD_1 src1_sel:DWORD
	v_cmpx_gt_u32_e32 56, v5
	s_cbranch_execz .LBB0_23
; %bb.22:
	v_mov_b32_e32 v41, 0xb08e
	v_bfi_b32 v31, 0xffff, v32, v31
	v_bfi_b32 v32, 0xffff, v35, v33
	;; [unrolled: 1-line block ×3, first 2 shown]
	v_mov_b32_e32 v35, 0xbbad
	v_mul_f16_sdwa v38, v30, v41 dst_sel:DWORD dst_unused:UNUSED_PAD src0_sel:WORD_1 src1_sel:DWORD
	v_bfi_b32 v37, 0xffff, v39, v37
	v_mov_b32_e32 v39, 0x36a6
	v_mov_b32_e32 v40, 0xbbeb
	v_mul_f16_sdwa v42, v29, v35 dst_sel:DWORD dst_unused:UNUSED_PAD src0_sel:WORD_1 src1_sel:DWORD
	v_fmamk_f16 v43, v25, 0x3beb, v38
	v_bfi_b32 v34, 0xffff, v36, v34
	v_mul_f16_sdwa v36, v28, v39 dst_sel:DWORD dst_unused:UNUSED_PAD src0_sel:WORD_1 src1_sel:DWORD
	v_mul_f16_sdwa v40, v25, v40 dst_sel:DWORD dst_unused:UNUSED_PAD src0_sel:WORD_1 src1_sel:DWORD
	v_fmamk_f16 v44, v23, 0xb482, v42
	v_add_f16_sdwa v43, v8, v43 dst_sel:DWORD dst_unused:UNUSED_PAD src0_sel:WORD_1 src1_sel:DWORD
	v_mov_b32_e32 v45, 0x3482
	v_fmamk_f16 v47, v21, 0xbb47, v36
	v_fmamk_f16 v48, v30, 0xb08e, v40
	v_mov_b32_e32 v49, 0x3b47
	v_add_f16_e32 v43, v44, v43
	v_mul_f16_sdwa v44, v23, v45 dst_sel:DWORD dst_unused:UNUSED_PAD src0_sel:WORD_1 src1_sel:DWORD
	v_mov_b32_e32 v46, 0x3abb
	v_add_f16_e32 v48, v8, v48
	v_mul_f16_sdwa v49, v21, v49 dst_sel:DWORD dst_unused:UNUSED_PAD src0_sel:WORD_1 src1_sel:DWORD
	v_add_f16_e32 v43, v47, v43
	v_fmamk_f16 v47, v29, 0xbbad, v44
	v_mov_b32_e32 v51, 0xb853
	v_mul_f16_sdwa v50, v27, v46 dst_sel:DWORD dst_unused:UNUSED_PAD src0_sel:WORD_1 src1_sel:DWORD
	v_mov_b32_e32 v53, 0xb93d
	v_mul_f16_sdwa v39, v30, v39 dst_sel:DWORD dst_unused:UNUSED_PAD src0_sel:WORD_1 src1_sel:DWORD
	v_add_f16_e32 v47, v47, v48
	v_fmamk_f16 v48, v28, 0x36a6, v49
	v_mul_f16_sdwa v51, v22, v51 dst_sel:DWORD dst_unused:UNUSED_PAD src0_sel:WORD_1 src1_sel:DWORD
	v_fmamk_f16 v52, v22, 0x3853, v50
	v_mov_b32_e32 v54, 0xbb47
	v_fmamk_f16 v56, v25, 0x3b47, v39
	v_add_f16_e32 v47, v48, v47
	v_fmamk_f16 v48, v27, 0x3abb, v51
	v_add_f16_e32 v43, v52, v43
	v_mul_f16_sdwa v52, v24, v53 dst_sel:DWORD dst_unused:UNUSED_PAD src0_sel:WORD_1 src1_sel:DWORD
	v_mul_f16_sdwa v53, v29, v53 dst_sel:DWORD dst_unused:UNUSED_PAD src0_sel:WORD_1 src1_sel:DWORD
	v_fmac_f16_e32 v38, 0xbbeb, v25
	v_add_f16_e32 v47, v48, v47
	v_mul_f16_sdwa v48, v25, v54 dst_sel:DWORD dst_unused:UNUSED_PAD src0_sel:WORD_1 src1_sel:DWORD
	v_mov_b32_e32 v54, 0xba0c
	v_add_f16_sdwa v56, v8, v56 dst_sel:DWORD dst_unused:UNUSED_PAD src0_sel:WORD_1 src1_sel:DWORD
	v_fmamk_f16 v57, v23, 0x3a0c, v53
	v_mul_f16_sdwa v35, v28, v35 dst_sel:DWORD dst_unused:UNUSED_PAD src0_sel:WORD_1 src1_sel:DWORD
	v_fmamk_f16 v58, v30, 0x36a6, v48
	v_mul_f16_sdwa v59, v23, v54 dst_sel:DWORD dst_unused:UNUSED_PAD src0_sel:WORD_1 src1_sel:DWORD
	v_add_f16_sdwa v38, v8, v38 dst_sel:DWORD dst_unused:UNUSED_PAD src0_sel:WORD_1 src1_sel:DWORD
	v_fmac_f16_e32 v42, 0x3482, v23
	v_fma_f16 v40, v30, 0xb08e, -v40
	v_add_f16_e32 v56, v57, v56
	v_fmamk_f16 v57, v21, 0xb482, v35
	v_add_f16_e32 v58, v8, v58
	v_fmamk_f16 v60, v29, 0xb93d, v59
	v_mul_f16_sdwa v45, v21, v45 dst_sel:DWORD dst_unused:UNUSED_PAD src0_sel:WORD_1 src1_sel:DWORD
	v_mov_b32_e32 v61, 0x3beb
	v_add_f16_e32 v38, v42, v38
	v_fmac_f16_e32 v36, 0x3b47, v21
	v_add_f16_e32 v40, v8, v40
	v_fma_f16 v44, v29, 0xbbad, -v44
	v_pk_add_f16 v9, v8, v9
	v_add_f16_e32 v56, v57, v56
	v_mul_f16_sdwa v41, v27, v41 dst_sel:DWORD dst_unused:UNUSED_PAD src0_sel:WORD_1 src1_sel:DWORD
	v_add_f16_e32 v57, v60, v58
	v_fmamk_f16 v58, v28, 0xbbad, v45
	v_mul_f16_sdwa v60, v22, v61 dst_sel:DWORD dst_unused:UNUSED_PAD src0_sel:WORD_1 src1_sel:DWORD
	v_mov_b32_e32 v61, 0x3853
	v_add_f16_e32 v36, v36, v38
	v_fmac_f16_e32 v39, 0xbb47, v25
	v_add_f16_e32 v38, v44, v40
	v_fma_f16 v40, v28, 0x36a6, -v49
	v_pk_add_f16 v9, v9, v16
	v_fmamk_f16 v62, v22, 0xbbeb, v41
	v_mul_f16_sdwa v46, v24, v46 dst_sel:DWORD dst_unused:UNUSED_PAD src0_sel:WORD_1 src1_sel:DWORD
	v_add_f16_e32 v57, v58, v57
	v_fmamk_f16 v58, v27, 0xb08e, v60
	v_mul_f16_sdwa v61, v20, v61 dst_sel:DWORD dst_unused:UNUSED_PAD src0_sel:WORD_1 src1_sel:DWORD
	v_add_f16_sdwa v39, v8, v39 dst_sel:DWORD dst_unused:UNUSED_PAD src0_sel:WORD_1 src1_sel:DWORD
	v_fmac_f16_e32 v53, 0xba0c, v23
	v_add_f16_e32 v38, v40, v38
	v_fma_f16 v40, v27, 0x3abb, -v51
	v_pk_add_f16 v9, v9, v17
	v_fmamk_f16 v55, v20, 0x3a0c, v52
	v_mul_f16_sdwa v54, v20, v54 dst_sel:DWORD dst_unused:UNUSED_PAD src0_sel:WORD_1 src1_sel:DWORD
	v_add_f16_e32 v56, v62, v56
	v_fmamk_f16 v62, v20, 0xb853, v46
	v_add_f16_e32 v57, v58, v57
	v_fmamk_f16 v58, v24, 0x3abb, v61
	v_add_f16_e32 v39, v53, v39
	v_fmac_f16_e32 v35, 0x3482, v21
	v_add_f16_e32 v16, v40, v38
	v_fma_f16 v38, v30, 0x36a6, -v48
	v_pk_add_f16 v9, v9, v14
	v_add_f16_e32 v43, v55, v43
	v_add_f16_e32 v55, v62, v56
	;; [unrolled: 1-line block ×3, first 2 shown]
	v_pk_mul_f16 v57, 0xb853, v25 op_sel_hi:[0,1]
	v_fma_f16 v40, v24, 0xb93d, -v54
	v_add_f16_e32 v35, v35, v39
	v_fmac_f16_e32 v41, 0x3beb, v22
	v_add_f16_e32 v17, v8, v38
	v_fma_f16 v38, v29, 0xb93d, -v59
	v_pk_add_f16 v9, v9, v15
	v_pk_mul_f16 v58, 0xbb47, v23 op_sel_hi:[0,1]
	v_add_f16_e32 v14, v40, v16
	v_add_f16_e32 v16, v41, v35
	;; [unrolled: 1-line block ×3, first 2 shown]
	v_fma_f16 v35, v28, 0xbbad, -v45
	v_pk_fma_f16 v15, 0x3abb, v30, v57 op_sel:[0,0,1] op_sel_hi:[0,1,0]
	v_pk_fma_f16 v38, 0x3abb, v30, v57 op_sel:[0,0,1] op_sel_hi:[0,1,0] neg_lo:[0,0,1] neg_hi:[0,0,1]
	v_pk_add_f16 v9, v9, v12
	v_pk_mul_f16 v62, 0xbbeb, v21 op_sel_hi:[0,1]
	v_add_f16_e32 v17, v35, v17
	v_fma_f16 v35, v27, 0xb08e, -v60
	v_bfi_b32 v12, 0xffff, v15, v38
	v_pk_fma_f16 v39, 0x36a6, v29, v58 op_sel:[0,0,1] op_sel_hi:[0,1,0]
	v_pk_fma_f16 v40, 0x36a6, v29, v58 op_sel:[0,0,1] op_sel_hi:[0,1,0] neg_lo:[0,0,1] neg_hi:[0,0,1]
	v_pk_add_f16 v9, v9, v13
	v_fmamk_f16 v63, v24, 0xb93d, v54
	v_pk_mul_f16 v42, 0xba0c, v22 op_sel_hi:[0,1]
	v_add_f16_e32 v17, v35, v17
	v_fma_f16 v35, v24, 0x3abb, -v61
	v_pk_add_f16 v12, v8, v12
	v_bfi_b32 v13, 0xffff, v39, v40
	v_pk_fma_f16 v41, 0xb08e, v28, v62 op_sel:[0,0,1] op_sel_hi:[0,1,0]
	v_pk_fma_f16 v44, 0xb08e, v28, v62 op_sel:[0,0,1] op_sel_hi:[0,1,0] neg_lo:[0,0,1] neg_hi:[0,0,1]
	v_pk_add_f16 v9, v9, v10
	v_add_f16_e32 v47, v63, v47
	v_pk_mul_f16 v63, 0xb482, v20 op_sel_hi:[0,1]
	v_fmac_f16_e32 v46, 0x3853, v20
	v_add_f16_e32 v17, v35, v17
	v_pk_add_f16 v10, v13, v12
	v_bfi_b32 v12, 0xffff, v41, v44
	v_pk_fma_f16 v13, 0xb93d, v27, v42 op_sel:[0,0,1] op_sel_hi:[0,1,0]
	v_pk_fma_f16 v35, 0xb93d, v27, v42 op_sel:[0,0,1] op_sel_hi:[0,1,0] neg_lo:[0,0,1] neg_hi:[0,0,1]
	v_pk_add_f16 v9, v9, v11
	v_pk_mul_f16 v11, 0xbbad, v30 op_sel_hi:[0,1]
	v_add_f16_e32 v16, v46, v16
	v_pk_add_f16 v10, v12, v10
	v_bfi_b32 v12, 0xffff, v13, v35
	v_pk_fma_f16 v30, 0xbbad, v24, v63 op_sel:[0,0,1] op_sel_hi:[0,1,0]
	v_pk_fma_f16 v45, 0xbbad, v24, v63 op_sel:[0,0,1] op_sel_hi:[0,1,0] neg_lo:[0,0,1] neg_hi:[0,0,1]
	v_pk_fma_f16 v46, 0xb482, v25, v11 op_sel:[0,0,1] op_sel_hi:[0,1,0]
	v_alignbit_b32 v48, s0, v8, 16
	v_pk_mul_f16 v29, 0x3abb, v29 op_sel_hi:[0,1]
	v_pk_add_f16 v10, v12, v10
	v_bfi_b32 v12, 0xffff, v30, v45
	v_pk_add_f16 v31, v8, v31
	v_pk_add_f16 v48, v48, v46
	v_pk_fma_f16 v49, 0x3853, v23, v29 op_sel:[0,0,1] op_sel_hi:[0,1,0]
	v_pk_mul_f16 v28, 0xb93d, v28 op_sel_hi:[0,1]
	v_pk_fma_f16 v11, 0xb482, v25, v11 op_sel:[0,0,1] op_sel_hi:[0,1,0] neg_lo:[0,1,0] neg_hi:[0,1,0]
	v_alignbit_b32 v25, s0, v46, 16
	v_mad_u32_u24 v42, v5, 40, v0
	v_pk_add_f16 v9, v9, v26
	v_pk_add_f16 v10, v12, v10
	;; [unrolled: 1-line block ×4, first 2 shown]
	v_pk_fma_f16 v31, 0xba0c, v21, v28 op_sel:[0,0,1] op_sel_hi:[0,1,0]
	v_pk_mul_f16 v27, 0x36a6, v27 op_sel_hi:[0,1]
	v_pk_add_f16 v11, v8, v11 op_sel:[1,0] op_sel_hi:[0,1]
	v_pk_fma_f16 v23, 0x3853, v23, v29 op_sel:[0,0,1] op_sel_hi:[0,1,0] neg_lo:[0,1,0] neg_hi:[0,1,0]
	v_pk_add_f16 v25, v8, v25
	v_alignbit_b32 v29, s0, v49, 16
	v_bfi_b32 v15, 0xffff, v38, v15
	ds_write2_b32 v42, v9, v10 offset1:1
	v_pk_add_f16 v10, v33, v12
	v_pk_add_f16 v12, v31, v26
	v_pk_fma_f16 v26, 0x3b47, v22, v27 op_sel:[0,0,1] op_sel_hi:[0,1,0]
	v_pk_mul_f16 v24, 0xb08e, v24 op_sel_hi:[0,1]
	v_pk_add_f16 v11, v23, v11
	v_pk_fma_f16 v21, 0xba0c, v21, v28 op_sel:[0,0,1] op_sel_hi:[0,1,0] neg_lo:[0,1,0] neg_hi:[0,1,0]
	v_pk_add_f16 v23, v29, v25
	v_alignbit_b32 v25, s0, v31, 16
	v_pk_add_f16 v8, v8, v15
	v_bfi_b32 v15, 0xffff, v40, v39
	v_fmac_f16_e32 v50, 0xb853, v22
	v_pk_fma_f16 v33, 0xbbeb, v20, v24 op_sel:[0,0,1] op_sel_hi:[0,1,0]
	v_pk_add_f16 v11, v21, v11
	v_pk_fma_f16 v21, 0x3b47, v22, v27 op_sel:[0,0,1] op_sel_hi:[0,1,0] neg_lo:[0,1,0] neg_hi:[0,1,0]
	v_pk_add_f16 v22, v25, v23
	v_alignbit_b32 v23, s0, v26, 16
	v_pk_add_f16 v8, v15, v8
	v_bfi_b32 v15, 0xffff, v44, v41
	v_fmac_f16_e32 v52, 0xba0c, v20
	v_pk_add_f16 v12, v26, v12
	v_pk_add_f16 v11, v21, v11
	v_pk_fma_f16 v20, 0xbbeb, v20, v24 op_sel:[0,0,1] op_sel_hi:[0,1,0] neg_lo:[0,1,0] neg_hi:[0,1,0]
	v_pk_add_f16 v21, v23, v22
	v_alignbit_b32 v22, s0, v33, 16
	v_add_f16_e32 v36, v50, v36
	v_pk_add_f16 v8, v15, v8
	v_bfi_b32 v13, 0xffff, v35, v13
	v_pk_add_f16 v10, v37, v10
	v_pk_add_f16 v12, v33, v12
	;; [unrolled: 1-line block ×4, first 2 shown]
	v_add_f16_e32 v36, v52, v36
	v_pk_add_f16 v8, v13, v8
	v_bfi_b32 v13, 0xffff, v45, v30
	v_pack_b32_f16 v9, v47, v43
	v_pack_b32_f16 v32, v56, v55
	v_pk_add_f16 v10, v34, v10
	v_alignbit_b32 v12, v12, v11, 16
	v_pack_b32_f16 v11, v15, v11
	v_pack_b32_f16 v14, v14, v36
	v_perm_b32 v15, v18, v7, 0x5040100
	v_pk_add_f16 v8, v13, v8
	v_pack_b32_f16 v13, v17, v16
	ds_write2_b32 v42, v32, v9 offset0:2 offset1:3
	ds_write_b32 v42, v10 offset:16
	ds_write2_b32 v42, v11, v12 offset0:5 offset1:6
	ds_write2_b32 v42, v15, v14 offset0:7 offset1:8
	;; [unrolled: 1-line block ×3, first 2 shown]
.LBB0_23:
	s_or_b32 exec_lo, exec_lo, s1
	v_and_b32_e32 v8, 0xff, v5
	s_waitcnt lgkmcnt(0)
	s_barrier
	buffer_gl0_inv
	v_mov_b32_e32 v23, 0x134
	v_mul_lo_u16 v8, 0x75, v8
	v_mov_b32_e32 v24, 2
	v_cmp_gt_u32_e64 s0, 0x4d, v5
	v_lshrrev_b16 v8, 8, v8
	v_sub_nc_u16 v9, v5, v8
	v_lshrrev_b16 v9, 1, v9
	v_and_b32_e32 v9, 0x7f, v9
	v_add_nc_u16 v8, v9, v8
	v_mov_b32_e32 v9, 6
	v_lshrrev_b16 v21, 3, v8
	v_mul_lo_u16 v8, v21, 11
	v_mul_u32_u24_sdwa v21, v21, v23 dst_sel:DWORD dst_unused:UNUSED_PAD src0_sel:WORD_0 src1_sel:DWORD
	v_sub_nc_u16 v22, v5, v8
	v_mul_u32_u24_sdwa v8, v22, v9 dst_sel:DWORD dst_unused:UNUSED_PAD src0_sel:BYTE_0 src1_sel:DWORD
	v_lshlrev_b32_sdwa v22, v24, v22 dst_sel:DWORD dst_unused:UNUSED_PAD src0_sel:DWORD src1_sel:BYTE_0
	v_lshlrev_b32_e32 v12, 2, v8
	v_add3_u32 v22, 0, v21, v22
	s_clause 0x1
	global_load_dwordx4 v[8:11], v12, s[12:13]
	global_load_dwordx2 v[12:13], v12, s[12:13] offset:16
	ds_read2_b32 v[14:15], v0 offset1:88
	ds_read2_b32 v[16:17], v19 offset0:48 offset1:136
	ds_read2_b32 v[19:20], v6 offset0:96 offset1:184
	ds_read_b32 v6, v0 offset:2112
	s_waitcnt vmcnt(0) lgkmcnt(0)
	s_barrier
	buffer_gl0_inv
	v_lshrrev_b32_e32 v25, 16, v15
	v_lshrrev_b32_e32 v26, 16, v16
	v_lshrrev_b32_e32 v27, 16, v20
	v_lshrrev_b32_e32 v28, 16, v6
	v_lshrrev_b32_e32 v23, 16, v17
	v_lshrrev_b32_e32 v24, 16, v19
	v_mul_f16_sdwa v21, v8, v25 dst_sel:DWORD dst_unused:UNUSED_PAD src0_sel:WORD_1 src1_sel:DWORD
	v_mul_f16_sdwa v29, v8, v15 dst_sel:DWORD dst_unused:UNUSED_PAD src0_sel:WORD_1 src1_sel:DWORD
	;; [unrolled: 1-line block ×12, first 2 shown]
	v_fmac_f16_e32 v21, v8, v15
	v_fma_f16 v8, v8, v25, -v29
	v_fmac_f16_e32 v30, v9, v16
	v_fma_f16 v9, v9, v26, -v31
	;; [unrolled: 2-line block ×6, first 2 shown]
	v_add_f16_e32 v13, v21, v38
	v_add_f16_e32 v15, v8, v6
	v_sub_f16_e32 v6, v8, v6
	v_add_f16_e32 v8, v30, v36
	v_add_f16_e32 v17, v9, v12
	v_sub_f16_e32 v16, v21, v38
	v_sub_f16_e32 v19, v30, v36
	;; [unrolled: 1-line block ×3, first 2 shown]
	v_add_f16_e32 v12, v32, v34
	v_add_f16_e32 v20, v10, v11
	v_sub_f16_e32 v21, v34, v32
	v_sub_f16_e32 v10, v11, v10
	v_add_f16_e32 v11, v8, v13
	v_add_f16_e32 v23, v17, v15
	v_sub_f16_e32 v24, v8, v13
	v_sub_f16_e32 v25, v17, v15
	;; [unrolled: 1-line block ×6, first 2 shown]
	v_add_f16_e32 v8, v21, v19
	v_add_f16_e32 v27, v10, v9
	v_sub_f16_e32 v28, v21, v19
	v_sub_f16_e32 v29, v10, v9
	;; [unrolled: 1-line block ×4, first 2 shown]
	v_add_f16_e32 v11, v12, v11
	v_add_f16_e32 v12, v20, v23
	v_sub_f16_e32 v21, v16, v21
	v_sub_f16_e32 v10, v6, v10
	v_add_f16_e32 v16, v8, v16
	v_add_f16_e32 v6, v27, v6
	v_mul_f16_e32 v13, 0x3a52, v13
	v_mul_f16_e32 v15, 0x3a52, v15
	;; [unrolled: 1-line block ×8, first 2 shown]
	v_add_f16_e32 v8, v11, v14
	v_add_f16_sdwa v14, v12, v14 dst_sel:DWORD dst_unused:UNUSED_PAD src0_sel:DWORD src1_sel:WORD_1
	v_fmamk_f16 v26, v26, 0x2b26, v13
	v_fmamk_f16 v17, v17, 0x2b26, v15
	v_fma_f16 v20, v24, 0x39e0, -v20
	v_fma_f16 v23, v25, 0x39e0, -v23
	;; [unrolled: 1-line block ×4, first 2 shown]
	v_fmamk_f16 v24, v21, 0xb574, v27
	v_fmamk_f16 v25, v10, 0xb574, v28
	v_fma_f16 v28, v9, 0xbb00, -v28
	v_fma_f16 v21, v21, 0x3574, -v29
	;; [unrolled: 1-line block ×3, first 2 shown]
	v_fmamk_f16 v9, v11, 0xbcab, v8
	v_fmamk_f16 v10, v12, 0xbcab, v14
	v_fma_f16 v27, v19, 0xbb00, -v27
	v_fmac_f16_e32 v24, 0xb70e, v16
	v_fmac_f16_e32 v25, 0xb70e, v6
	;; [unrolled: 1-line block ×4, first 2 shown]
	v_add_f16_e32 v6, v26, v9
	v_add_f16_e32 v26, v17, v10
	v_fmac_f16_e32 v27, 0xb70e, v16
	v_fmac_f16_e32 v21, 0xb70e, v16
	v_add_f16_e32 v12, v20, v9
	v_add_f16_e32 v13, v13, v9
	;; [unrolled: 1-line block ×5, first 2 shown]
	v_sub_f16_e32 v15, v26, v24
	v_add_f16_e32 v10, v29, v13
	v_sub_f16_e32 v19, v20, v21
	v_sub_f16_e32 v11, v12, v28
	v_add_f16_e32 v16, v27, v17
	v_add_f16_e32 v12, v28, v12
	v_sub_f16_e32 v17, v17, v27
	v_sub_f16_e32 v13, v13, v29
	v_add_f16_e32 v20, v21, v20
	v_sub_f16_e32 v6, v6, v25
	v_add_f16_e32 v21, v24, v26
	v_pack_b32_f16 v30, v8, v14
	v_pack_b32_f16 v23, v9, v15
	;; [unrolled: 1-line block ×7, first 2 shown]
	ds_write2_b32 v22, v30, v23 offset1:11
	ds_write2_b32 v22, v24, v25 offset0:22 offset1:33
	ds_write2_b32 v22, v26, v27 offset0:44 offset1:55
	ds_write_b32 v22, v28 offset:264
	s_waitcnt lgkmcnt(0)
	s_barrier
	buffer_gl0_inv
	s_and_saveexec_b32 s1, s0
	s_cbranch_execz .LBB0_25
; %bb.24:
	v_add_nc_u32_e32 v6, 0x400, v0
	v_add_nc_u32_e32 v7, 0x600, v0
	ds_read2_b32 v[8:9], v0 offset1:77
	ds_read2_b32 v[10:11], v0 offset0:154 offset1:231
	ds_read2_b32 v[12:13], v6 offset0:52 offset1:129
	;; [unrolled: 1-line block ×3, first 2 shown]
	s_waitcnt lgkmcnt(3)
	v_lshrrev_b32_e32 v14, 16, v8
	v_lshrrev_b32_e32 v15, 16, v9
	s_waitcnt lgkmcnt(2)
	v_lshrrev_b32_e32 v19, 16, v10
	v_lshrrev_b32_e32 v16, 16, v11
	;; [unrolled: 3-line block ×4, first 2 shown]
.LBB0_25:
	s_or_b32 exec_lo, exec_lo, s1
	s_barrier
	buffer_gl0_inv
	s_and_saveexec_b32 s1, s0
	s_cbranch_execz .LBB0_27
; %bb.26:
	v_add_nc_u32_e32 v22, 0xffffffb3, v5
	v_mov_b32_e32 v23, 0
	v_add_nc_u32_e32 v29, 0x400, v0
	v_cndmask_b32_e64 v22, v22, v5, s0
	v_mul_i32_i24_e32 v22, 7, v22
	v_lshlrev_b64 v[22:23], 2, v[22:23]
	v_add_co_u32 v26, s0, s12, v22
	v_add_co_ci_u32_e64 v27, s0, s13, v23, s0
	s_clause 0x1
	global_load_dwordx4 v[22:25], v[26:27], off offset:264
	global_load_dwordx3 v[26:28], v[26:27], off offset:280
	s_waitcnt vmcnt(1)
	v_mul_f16_sdwa v30, v17, v25 dst_sel:DWORD dst_unused:UNUSED_PAD src0_sel:DWORD src1_sel:WORD_1
	v_mul_f16_sdwa v31, v10, v23 dst_sel:DWORD dst_unused:UNUSED_PAD src0_sel:DWORD src1_sel:WORD_1
	s_waitcnt vmcnt(0)
	v_mul_f16_sdwa v32, v6, v27 dst_sel:DWORD dst_unused:UNUSED_PAD src0_sel:DWORD src1_sel:WORD_1
	v_mul_f16_sdwa v33, v9, v22 dst_sel:DWORD dst_unused:UNUSED_PAD src0_sel:DWORD src1_sel:WORD_1
	;; [unrolled: 1-line block ×12, first 2 shown]
	v_fmac_f16_e32 v30, v12, v25
	v_fma_f16 v12, v19, v23, -v31
	v_fma_f16 v19, v21, v27, -v32
	;; [unrolled: 1-line block ×4, first 2 shown]
	v_fmac_f16_e32 v35, v11, v24
	v_fmac_f16_e32 v36, v7, v28
	;; [unrolled: 1-line block ×4, first 2 shown]
	v_fma_f16 v7, v16, v24, -v39
	v_fma_f16 v9, v18, v28, -v40
	;; [unrolled: 1-line block ×3, first 2 shown]
	v_fmac_f16_e32 v42, v10, v23
	v_fmac_f16_e32 v43, v6, v27
	v_sub_f16_e32 v6, v8, v30
	v_sub_f16_e32 v10, v12, v19
	;; [unrolled: 1-line block ×8, first 2 shown]
	v_add_f16_e32 v20, v6, v10
	v_sub_f16_e32 v21, v13, v16
	v_add_f16_e32 v22, v17, v9
	v_fma_f16 v8, v8, 2.0, -v6
	v_sub_f16_e32 v23, v11, v18
	v_fma_f16 v18, v42, 2.0, -v18
	v_fma_f16 v15, v15, 2.0, -v13
	;; [unrolled: 1-line block ×7, first 2 shown]
	v_fmamk_f16 v16, v22, 0x39a8, v20
	v_sub_f16_e32 v18, v8, v18
	v_sub_f16_e32 v7, v15, v7
	;; [unrolled: 1-line block ×4, first 2 shown]
	v_fma_f16 v6, v6, 2.0, -v20
	v_fma_f16 v13, v13, 2.0, -v21
	;; [unrolled: 1-line block ×4, first 2 shown]
	v_fmamk_f16 v24, v21, 0x39a8, v23
	v_fmac_f16_e32 v16, 0x39a8, v21
	v_add_f16_e32 v21, v18, v7
	v_fmamk_f16 v25, v17, 0xb9a8, v6
	v_fmamk_f16 v26, v13, 0xb9a8, v11
	v_fma_f16 v8, v8, 2.0, -v18
	v_fma_f16 v12, v12, 2.0, -v14
	v_fma_f16 v9, v9, 2.0, -v10
	v_fma_f16 v7, v15, 2.0, -v7
	v_fmac_f16_e32 v24, 0xb9a8, v22
	v_sub_f16_e32 v22, v10, v14
	v_fmac_f16_e32 v25, 0x39a8, v13
	v_fmac_f16_e32 v26, 0xb9a8, v17
	v_sub_f16_e32 v12, v8, v12
	v_sub_f16_e32 v7, v9, v7
	v_fma_f16 v14, v20, 2.0, -v16
	v_fma_f16 v15, v23, 2.0, -v24
	v_fma_f16 v13, v18, 2.0, -v21
	v_fma_f16 v10, v10, 2.0, -v22
	v_fma_f16 v6, v6, 2.0, -v25
	v_fma_f16 v11, v11, 2.0, -v26
	v_fma_f16 v8, v8, 2.0, -v12
	v_fma_f16 v9, v9, 2.0, -v7
	v_pack_b32_f16 v10, v13, v10
	v_pack_b32_f16 v13, v14, v15
	;; [unrolled: 1-line block ×6, first 2 shown]
	v_add_nc_u32_e32 v19, 0x600, v0
	v_pack_b32_f16 v17, v21, v22
	v_pack_b32_f16 v9, v16, v24
	ds_write2_b32 v0, v10, v13 offset0:154 offset1:231
	ds_write2_b32 v29, v7, v12 offset0:52 offset1:129
	ds_write2_b32 v0, v8, v6 offset1:77
	ds_write2_b32 v19, v17, v9 offset0:78 offset1:155
.LBB0_27:
	s_or_b32 exec_lo, exec_lo, s1
	s_waitcnt lgkmcnt(0)
	s_barrier
	buffer_gl0_inv
	s_and_saveexec_b32 s0, vcc_lo
	s_cbranch_execz .LBB0_29
; %bb.28:
	v_mul_lo_u32 v0, s3, v3
	v_mul_lo_u32 v6, s2, v4
	v_mad_u64_u32 v[3:4], null, s2, v3, 0
	v_lshl_add_u32 v15, v5, 2, 0
	v_add_nc_u32_e32 v7, 0x58, v5
	v_add_nc_u32_e32 v9, 0xb0, v5
	ds_read2_b32 v[11:12], v15 offset1:88
	v_add3_u32 v4, v4, v6, v0
	v_lshlrev_b64 v[0:1], 2, v[1:2]
	v_mov_b32_e32 v6, 0
	v_lshlrev_b64 v[2:3], 2, v[3:4]
	v_add_nc_u32_e32 v4, 0x200, v15
	v_mov_b32_e32 v8, v6
	v_lshlrev_b64 v[13:14], 2, v[5:6]
	v_mov_b32_e32 v10, v6
	v_add_co_u32 v2, vcc_lo, s10, v2
	v_add_co_ci_u32_e32 v3, vcc_lo, s11, v3, vcc_lo
	v_add_co_u32 v16, vcc_lo, v2, v0
	v_add_co_ci_u32_e32 v17, vcc_lo, v3, v1, vcc_lo
	v_lshlrev_b64 v[0:1], 2, v[7:8]
	v_add_co_u32 v2, vcc_lo, v16, v13
	v_add_co_ci_u32_e32 v3, vcc_lo, v17, v14, vcc_lo
	v_add_nc_u32_e32 v7, 0x108, v5
	v_add_co_u32 v0, vcc_lo, v16, v0
	v_add_co_ci_u32_e32 v1, vcc_lo, v17, v1, vcc_lo
	s_waitcnt lgkmcnt(0)
	global_store_dword v[2:3], v11, off
	global_store_dword v[0:1], v12, off
	ds_read2_b32 v[0:1], v4 offset0:48 offset1:136
	v_add_nc_u32_e32 v4, 0x400, v15
	v_lshlrev_b64 v[2:3], 2, v[9:10]
	v_add_nc_u32_e32 v9, 0x160, v5
	v_lshlrev_b64 v[7:8], 2, v[7:8]
	v_add_nc_u32_e32 v13, 0x1b8, v5
	ds_read2_b32 v[11:12], v4 offset0:96 offset1:184
	v_mov_b32_e32 v14, v6
	ds_read_b32 v15, v15 offset:2112
	v_add_co_u32 v2, vcc_lo, v16, v2
	v_lshlrev_b64 v[9:10], 2, v[9:10]
	v_add_nc_u32_e32 v5, 0x210, v5
	v_add_co_ci_u32_e32 v3, vcc_lo, v17, v3, vcc_lo
	v_add_co_u32 v7, vcc_lo, v16, v7
	v_lshlrev_b64 v[13:14], 2, v[13:14]
	v_add_co_ci_u32_e32 v8, vcc_lo, v17, v8, vcc_lo
	v_add_co_u32 v9, vcc_lo, v16, v9
	v_lshlrev_b64 v[4:5], 2, v[5:6]
	v_add_co_ci_u32_e32 v10, vcc_lo, v17, v10, vcc_lo
	v_add_co_u32 v13, vcc_lo, v16, v13
	v_add_co_ci_u32_e32 v14, vcc_lo, v17, v14, vcc_lo
	v_add_co_u32 v4, vcc_lo, v16, v4
	v_add_co_ci_u32_e32 v5, vcc_lo, v17, v5, vcc_lo
	s_waitcnt lgkmcnt(2)
	global_store_dword v[2:3], v0, off
	global_store_dword v[7:8], v1, off
	s_waitcnt lgkmcnt(1)
	global_store_dword v[9:10], v11, off
	global_store_dword v[13:14], v12, off
	s_waitcnt lgkmcnt(0)
	global_store_dword v[4:5], v15, off
.LBB0_29:
	s_endpgm
	.section	.rodata,"a",@progbits
	.p2align	6, 0x0
	.amdhsa_kernel fft_rtc_back_len616_factors_11_7_8_wgs_88_tpt_88_half_op_CI_CI_unitstride_sbrr_C2R_dirReg
		.amdhsa_group_segment_fixed_size 0
		.amdhsa_private_segment_fixed_size 0
		.amdhsa_kernarg_size 104
		.amdhsa_user_sgpr_count 6
		.amdhsa_user_sgpr_private_segment_buffer 1
		.amdhsa_user_sgpr_dispatch_ptr 0
		.amdhsa_user_sgpr_queue_ptr 0
		.amdhsa_user_sgpr_kernarg_segment_ptr 1
		.amdhsa_user_sgpr_dispatch_id 0
		.amdhsa_user_sgpr_flat_scratch_init 0
		.amdhsa_user_sgpr_private_segment_size 0
		.amdhsa_wavefront_size32 1
		.amdhsa_uses_dynamic_stack 0
		.amdhsa_system_sgpr_private_segment_wavefront_offset 0
		.amdhsa_system_sgpr_workgroup_id_x 1
		.amdhsa_system_sgpr_workgroup_id_y 0
		.amdhsa_system_sgpr_workgroup_id_z 0
		.amdhsa_system_sgpr_workgroup_info 0
		.amdhsa_system_vgpr_workitem_id 0
		.amdhsa_next_free_vgpr 64
		.amdhsa_next_free_sgpr 27
		.amdhsa_reserve_vcc 1
		.amdhsa_reserve_flat_scratch 0
		.amdhsa_float_round_mode_32 0
		.amdhsa_float_round_mode_16_64 0
		.amdhsa_float_denorm_mode_32 3
		.amdhsa_float_denorm_mode_16_64 3
		.amdhsa_dx10_clamp 1
		.amdhsa_ieee_mode 1
		.amdhsa_fp16_overflow 0
		.amdhsa_workgroup_processor_mode 1
		.amdhsa_memory_ordered 1
		.amdhsa_forward_progress 0
		.amdhsa_shared_vgpr_count 0
		.amdhsa_exception_fp_ieee_invalid_op 0
		.amdhsa_exception_fp_denorm_src 0
		.amdhsa_exception_fp_ieee_div_zero 0
		.amdhsa_exception_fp_ieee_overflow 0
		.amdhsa_exception_fp_ieee_underflow 0
		.amdhsa_exception_fp_ieee_inexact 0
		.amdhsa_exception_int_div_zero 0
	.end_amdhsa_kernel
	.text
.Lfunc_end0:
	.size	fft_rtc_back_len616_factors_11_7_8_wgs_88_tpt_88_half_op_CI_CI_unitstride_sbrr_C2R_dirReg, .Lfunc_end0-fft_rtc_back_len616_factors_11_7_8_wgs_88_tpt_88_half_op_CI_CI_unitstride_sbrr_C2R_dirReg
                                        ; -- End function
	.section	.AMDGPU.csdata,"",@progbits
; Kernel info:
; codeLenInByte = 6900
; NumSgprs: 29
; NumVgprs: 64
; ScratchSize: 0
; MemoryBound: 0
; FloatMode: 240
; IeeeMode: 1
; LDSByteSize: 0 bytes/workgroup (compile time only)
; SGPRBlocks: 3
; VGPRBlocks: 7
; NumSGPRsForWavesPerEU: 29
; NumVGPRsForWavesPerEU: 64
; Occupancy: 16
; WaveLimiterHint : 1
; COMPUTE_PGM_RSRC2:SCRATCH_EN: 0
; COMPUTE_PGM_RSRC2:USER_SGPR: 6
; COMPUTE_PGM_RSRC2:TRAP_HANDLER: 0
; COMPUTE_PGM_RSRC2:TGID_X_EN: 1
; COMPUTE_PGM_RSRC2:TGID_Y_EN: 0
; COMPUTE_PGM_RSRC2:TGID_Z_EN: 0
; COMPUTE_PGM_RSRC2:TIDIG_COMP_CNT: 0
	.text
	.p2alignl 6, 3214868480
	.fill 48, 4, 3214868480
	.type	__hip_cuid_9ba4ce5ace10a2f8,@object ; @__hip_cuid_9ba4ce5ace10a2f8
	.section	.bss,"aw",@nobits
	.globl	__hip_cuid_9ba4ce5ace10a2f8
__hip_cuid_9ba4ce5ace10a2f8:
	.byte	0                               ; 0x0
	.size	__hip_cuid_9ba4ce5ace10a2f8, 1

	.ident	"AMD clang version 19.0.0git (https://github.com/RadeonOpenCompute/llvm-project roc-6.4.0 25133 c7fe45cf4b819c5991fe208aaa96edf142730f1d)"
	.section	".note.GNU-stack","",@progbits
	.addrsig
	.addrsig_sym __hip_cuid_9ba4ce5ace10a2f8
	.amdgpu_metadata
---
amdhsa.kernels:
  - .args:
      - .actual_access:  read_only
        .address_space:  global
        .offset:         0
        .size:           8
        .value_kind:     global_buffer
      - .offset:         8
        .size:           8
        .value_kind:     by_value
      - .actual_access:  read_only
        .address_space:  global
        .offset:         16
        .size:           8
        .value_kind:     global_buffer
      - .actual_access:  read_only
        .address_space:  global
        .offset:         24
        .size:           8
        .value_kind:     global_buffer
      - .actual_access:  read_only
        .address_space:  global
        .offset:         32
        .size:           8
        .value_kind:     global_buffer
      - .offset:         40
        .size:           8
        .value_kind:     by_value
      - .actual_access:  read_only
        .address_space:  global
        .offset:         48
        .size:           8
        .value_kind:     global_buffer
      - .actual_access:  read_only
        .address_space:  global
        .offset:         56
        .size:           8
        .value_kind:     global_buffer
      - .offset:         64
        .size:           4
        .value_kind:     by_value
      - .actual_access:  read_only
        .address_space:  global
        .offset:         72
        .size:           8
        .value_kind:     global_buffer
      - .actual_access:  read_only
        .address_space:  global
        .offset:         80
        .size:           8
        .value_kind:     global_buffer
      - .actual_access:  read_only
        .address_space:  global
        .offset:         88
        .size:           8
        .value_kind:     global_buffer
      - .actual_access:  write_only
        .address_space:  global
        .offset:         96
        .size:           8
        .value_kind:     global_buffer
    .group_segment_fixed_size: 0
    .kernarg_segment_align: 8
    .kernarg_segment_size: 104
    .language:       OpenCL C
    .language_version:
      - 2
      - 0
    .max_flat_workgroup_size: 88
    .name:           fft_rtc_back_len616_factors_11_7_8_wgs_88_tpt_88_half_op_CI_CI_unitstride_sbrr_C2R_dirReg
    .private_segment_fixed_size: 0
    .sgpr_count:     29
    .sgpr_spill_count: 0
    .symbol:         fft_rtc_back_len616_factors_11_7_8_wgs_88_tpt_88_half_op_CI_CI_unitstride_sbrr_C2R_dirReg.kd
    .uniform_work_group_size: 1
    .uses_dynamic_stack: false
    .vgpr_count:     64
    .vgpr_spill_count: 0
    .wavefront_size: 32
    .workgroup_processor_mode: 1
amdhsa.target:   amdgcn-amd-amdhsa--gfx1030
amdhsa.version:
  - 1
  - 2
...

	.end_amdgpu_metadata
